;; amdgpu-corpus repo=ROCm/rocFFT kind=compiled arch=gfx1201 opt=O3
	.text
	.amdgcn_target "amdgcn-amd-amdhsa--gfx1201"
	.amdhsa_code_object_version 6
	.protected	fft_rtc_fwd_len128_factors_2_4_4_4_wgs_128_tpt_8_dim2_dp_op_CI_CI_sbrc_aligned_dirReg ; -- Begin function fft_rtc_fwd_len128_factors_2_4_4_4_wgs_128_tpt_8_dim2_dp_op_CI_CI_sbrc_aligned_dirReg
	.globl	fft_rtc_fwd_len128_factors_2_4_4_4_wgs_128_tpt_8_dim2_dp_op_CI_CI_sbrc_aligned_dirReg
	.p2align	8
	.type	fft_rtc_fwd_len128_factors_2_4_4_4_wgs_128_tpt_8_dim2_dp_op_CI_CI_sbrc_aligned_dirReg,@function
fft_rtc_fwd_len128_factors_2_4_4_4_wgs_128_tpt_8_dim2_dp_op_CI_CI_sbrc_aligned_dirReg: ; @fft_rtc_fwd_len128_factors_2_4_4_4_wgs_128_tpt_8_dim2_dp_op_CI_CI_sbrc_aligned_dirReg
; %bb.0:
	s_load_b256 s[4:11], s[0:1], 0x0
	s_mov_b32 s17, 0
	v_bfe_u32 v98, v0, 4, 1
	s_wait_kmcnt 0x0
	s_load_b32 s2, s[6:7], 0x8
	s_clause 0x1
	s_load_b128 s[12:15], s[8:9], 0x0
	s_load_b64 s[18:19], s[8:9], 0x10
	s_wait_kmcnt 0x0
	s_mov_b32 s15, s17
	s_add_co_i32 s2, s2, -1
	s_delay_alu instid0(SALU_CYCLE_1) | instskip(NEXT) | instid1(SALU_CYCLE_1)
	s_lshr_b32 s2, s2, 4
	s_add_co_i32 s16, s2, 1
	s_not_b32 s2, s2
	s_cvt_f32_u32 s3, s16
	s_delay_alu instid0(SALU_CYCLE_3) | instskip(NEXT) | instid1(TRANS32_DEP_1)
	v_rcp_iflag_f32_e32 v1, s3
	v_readfirstlane_b32 s3, v1
	v_mad_co_u64_u32 v[1:2], null, s12, v0, 0
	s_delay_alu instid0(VALU_DEP_2) | instskip(NEXT) | instid1(VALU_DEP_1)
	s_mul_f32 s3, s3, 0x4f7ffffe
	v_mad_co_u64_u32 v[2:3], null, s13, v0, v[2:3]
	s_wait_alu 0xfffe
	s_delay_alu instid0(SALU_CYCLE_1) | instskip(SKIP_1) | instid1(SALU_CYCLE_2)
	s_cvt_u32_f32 s3, s3
	s_wait_alu 0xfffe
	s_mul_i32 s2, s2, s3
	s_wait_alu 0xfffe
	s_mul_hi_u32 s2, s3, s2
	s_delay_alu instid0(VALU_DEP_1) | instskip(SKIP_4) | instid1(SALU_CYCLE_1)
	v_lshlrev_b64_e32 v[1:2], 4, v[1:2]
	s_wait_alu 0xfffe
	s_add_co_i32 s3, s3, s2
	s_wait_alu 0xfffe
	s_mul_hi_u32 s6, ttmp9, s3
	s_mul_i32 s2, s6, s16
	s_add_co_i32 s8, s6, 1
	s_wait_alu 0xfffe
	s_sub_co_i32 s7, ttmp9, s2
	s_load_b128 s[0:3], s[0:1], 0x50
	s_sub_co_i32 s9, s7, s16
	s_cmp_ge_u32 s7, s16
	s_cselect_b32 s6, s8, s6
	s_cselect_b32 s7, s9, s7
	s_add_co_i32 s8, s6, 1
	s_cmp_ge_u32 s7, s16
	s_mov_b32 s7, s17
	s_cselect_b32 s6, s8, s6
	s_lshl_b64 s[12:13], s[14:15], 4
	s_mul_i32 s8, s6, s16
	s_mul_u64 s[18:19], s[18:19], s[6:7]
	s_sub_co_i32 s8, ttmp9, s8
	s_lshl_b64 s[18:19], s[18:19], 4
	s_lshl_b32 s8, s8, 4
	s_delay_alu instid0(SALU_CYCLE_1) | instskip(NEXT) | instid1(SALU_CYCLE_1)
	s_mul_i32 s16, s8, s14
	s_lshl_b64 s[20:21], s[16:17], 4
	s_wait_kmcnt 0x0
	s_add_nc_u64 s[0:1], s[0:1], s[18:19]
	s_add_co_i32 s16, s14, s14
	s_add_nc_u64 s[0:1], s[0:1], s[20:21]
	s_lshl_b64 s[22:23], s[16:17], 4
	v_add_co_u32 v1, vcc_lo, s0, v1
	v_add_co_ci_u32_e32 v2, vcc_lo, s1, v2, vcc_lo
	s_add_co_i32 s16, s16, s14
	s_wait_alu 0xfffe
	s_delay_alu instid0(VALU_DEP_2)
	v_add_co_u32 v3, vcc_lo, v1, s12
	s_wait_alu 0xfffd
	v_add_co_ci_u32_e32 v4, vcc_lo, s13, v2, vcc_lo
	v_add_co_u32 v5, vcc_lo, v1, s22
	s_lshl_b64 s[18:19], s[16:17], 4
	s_add_co_i32 s16, s16, s14
	s_wait_alu 0xfffd
	v_add_co_ci_u32_e32 v6, vcc_lo, s23, v2, vcc_lo
	v_add_co_u32 v20, vcc_lo, v1, s18
	s_lshl_b64 s[20:21], s[16:17], 4
	s_add_co_i32 s16, s16, s14
	s_wait_alu 0xfffd
	v_add_co_ci_u32_e32 v21, vcc_lo, s19, v2, vcc_lo
	v_add_co_u32 v24, vcc_lo, v1, s20
	s_lshl_b64 s[0:1], s[16:17], 4
	s_wait_alu 0xfffd
	v_add_co_ci_u32_e32 v25, vcc_lo, s21, v2, vcc_lo
	s_add_co_i32 s16, s16, s14
	s_wait_alu 0xfffe
	v_add_co_u32 v28, vcc_lo, v1, s0
	s_wait_alu 0xfffd
	v_add_co_ci_u32_e32 v29, vcc_lo, s1, v2, vcc_lo
	s_lshl_b64 s[0:1], s[16:17], 4
	s_add_co_i32 s16, s16, s14
	s_wait_alu 0xfffe
	v_add_co_u32 v32, vcc_lo, v1, s0
	s_wait_alu 0xfffd
	v_add_co_ci_u32_e32 v33, vcc_lo, s1, v2, vcc_lo
	s_lshl_b64 s[0:1], s[16:17], 4
	s_add_co_i32 s16, s16, s14
	s_clause 0x3
	global_load_b128 v[7:10], v[1:2], off
	global_load_b128 v[12:15], v[3:4], off
	;; [unrolled: 1-line block ×4, first 2 shown]
	s_wait_alu 0xfffe
	v_add_co_u32 v3, vcc_lo, v1, s0
	s_wait_alu 0xfffd
	v_add_co_ci_u32_e32 v4, vcc_lo, s1, v2, vcc_lo
	s_lshl_b64 s[0:1], s[16:17], 4
	s_add_co_i32 s16, s16, s14
	s_wait_alu 0xfffe
	v_add_co_u32 v5, vcc_lo, v1, s0
	s_wait_alu 0xfffd
	v_add_co_ci_u32_e32 v6, vcc_lo, s1, v2, vcc_lo
	s_lshl_b64 s[0:1], s[16:17], 4
	s_add_co_i32 s16, s16, s14
	s_wait_alu 0xfffe
	v_add_co_u32 v44, vcc_lo, v1, s0
	s_wait_alu 0xfffd
	v_add_co_ci_u32_e32 v45, vcc_lo, s1, v2, vcc_lo
	s_lshl_b64 s[0:1], s[16:17], 4
	s_clause 0x1
	global_load_b128 v[24:27], v[24:25], off
	global_load_b128 v[28:31], v[28:29], off
	s_add_co_i32 s16, s16, s14
	s_clause 0x1
	global_load_b128 v[32:35], v[32:33], off
	global_load_b128 v[36:39], v[3:4], off
	s_wait_alu 0xfffe
	v_add_co_u32 v3, vcc_lo, v1, s0
	s_wait_alu 0xfffd
	v_add_co_ci_u32_e32 v4, vcc_lo, s1, v2, vcc_lo
	s_lshl_b64 s[0:1], s[16:17], 4
	s_add_co_i32 s16, s16, s14
	s_wait_alu 0xfffe
	v_add_co_u32 v52, vcc_lo, v1, s0
	s_wait_alu 0xfffd
	v_add_co_ci_u32_e32 v53, vcc_lo, s1, v2, vcc_lo
	s_lshl_b64 s[0:1], s[16:17], 4
	s_clause 0x1
	global_load_b128 v[40:43], v[5:6], off
	global_load_b128 v[44:47], v[44:45], off
	s_add_co_i32 s16, s16, s14
	s_wait_alu 0xfffe
	v_add_co_u32 v5, vcc_lo, v1, s0
	s_wait_alu 0xfffd
	v_add_co_ci_u32_e32 v6, vcc_lo, s1, v2, vcc_lo
	s_lshl_b64 s[0:1], s[16:17], 4
	s_add_co_i32 s16, s16, s14
	s_wait_alu 0xfffe
	v_add_co_u32 v60, vcc_lo, v1, s0
	s_wait_alu 0xfffd
	v_add_co_ci_u32_e32 v61, vcc_lo, s1, v2, vcc_lo
	s_lshl_b64 s[0:1], s[16:17], 4
	;; [unrolled: 6-line block ×3, first 2 shown]
	s_wait_alu 0xfffe
	v_add_co_u32 v1, vcc_lo, v1, s0
	s_wait_alu 0xfffd
	v_add_co_ci_u32_e32 v2, vcc_lo, s1, v2, vcc_lo
	s_clause 0x5
	global_load_b128 v[48:51], v[3:4], off
	global_load_b128 v[52:55], v[52:53], off
	;; [unrolled: 1-line block ×6, first 2 shown]
	v_lshrrev_b32_e32 v2, 4, v0
	v_and_b32_e32 v1, 15, v0
	v_lshl_add_u32 v4, v0, 8, 0
	s_clause 0x1
	s_load_b128 s[12:15], s[10:11], 0x0
	s_load_b64 s[0:1], s[10:11], 0x10
	v_lshrrev_b32_e32 v0, 2, v0
	v_lshlrev_b32_e32 v6, 8, v2
	v_lshlrev_b32_e32 v11, 4, v1
	v_or_b32_e32 v5, 16, v2
	s_wait_loadcnt 0xf
	ds_store_b128 v4, v[7:10]
	s_wait_loadcnt 0xe
	ds_store_b128 v4, v[12:15] offset:16
	s_wait_loadcnt 0xd
	ds_store_b128 v4, v[16:19] offset:32
	;; [unrolled: 2-line block ×15, first 2 shown]
	v_add3_u32 v3, 0, v6, v11
	global_wb scope:SCOPE_SE
	s_wait_dscnt 0x0
	s_wait_kmcnt 0x0
	s_barrier_signal -1
	s_barrier_wait -1
	global_inv scope:SCOPE_SE
	ds_load_b128 v[7:10], v3 offset:16384
	ds_load_b128 v[12:15], v3
	ds_load_b128 v[16:19], v3 offset:2048
	ds_load_b128 v[20:23], v3 offset:18432
	;; [unrolled: 1-line block ×14, first 2 shown]
	v_or_b32_e32 v4, 24, v2
	v_lshlrev_b32_e32 v76, 9, v5
	v_add_nc_u32_e32 v6, v3, v6
	global_wb scope:SCOPE_SE
	s_wait_dscnt 0x0
	s_barrier_signal -1
	v_add_f64_e64 v[72:73], v[12:13], -v[7:8]
	v_add_f64_e64 v[74:75], v[14:15], -v[9:10]
	;; [unrolled: 1-line block ×16, first 2 shown]
	v_or_b32_e32 v8, 8, v2
	v_or_b32_e32 v7, 32, v2
	v_mul_u32_u24_e32 v9, 3, v98
	v_lshlrev_b32_e32 v77, 9, v4
	v_add3_u32 v76, 0, v76, v11
	v_lshlrev_b32_e32 v10, 9, v8
	v_lshlrev_b32_e32 v78, 9, v7
	v_lshlrev_b32_e32 v9, 4, v9
	v_add3_u32 v99, 0, v77, v11
	s_barrier_wait -1
	v_add3_u32 v10, 0, v10, v11
	v_add3_u32 v77, 0, v78, v11
	global_inv scope:SCOPE_SE
	v_and_or_b32 v0, v0, 24, v98
	s_mul_u64 s[0:1], s[0:1], s[6:7]
	s_wait_alu 0xfffe
	s_lshl_b64 s[0:1], s[0:1], 4
	s_wait_alu 0xfffe
	s_add_nc_u64 s[0:1], s[0:1], s[2:3]
	v_fma_f64 v[12:13], v[12:13], 2.0, -v[72:73]
	v_fma_f64 v[14:15], v[14:15], 2.0, -v[74:75]
	;; [unrolled: 1-line block ×16, first 2 shown]
	ds_store_b128 v6, v[12:15]
	ds_store_b128 v6, v[72:75] offset:256
	ds_store_b128 v10, v[16:19]
	ds_store_b128 v10, v[20:23] offset:256
	;; [unrolled: 2-line block ×5, first 2 shown]
	ds_store_b128 v6, v[48:51] offset:20480
	ds_store_b128 v6, v[52:55] offset:20736
	;; [unrolled: 1-line block ×6, first 2 shown]
	global_wb scope:SCOPE_SE
	s_wait_dscnt 0x0
	s_barrier_signal -1
	s_barrier_wait -1
	global_inv scope:SCOPE_SE
	s_clause 0x2
	global_load_b128 v[12:15], v9, s[4:5]
	global_load_b128 v[16:19], v9, s[4:5] offset:16
	global_load_b128 v[20:23], v9, s[4:5] offset:32
	v_lshlrev_b32_e32 v6, 8, v7
	s_delay_alu instid0(VALU_DEP_1)
	v_sub_nc_u32_e32 v9, v77, v6
	v_lshlrev_b32_e32 v6, 8, v8
	ds_load_b128 v[24:27], v9
	ds_load_b128 v[28:31], v3 offset:16384
	v_add3_u32 v10, 0, v6, v11
	ds_load_b128 v[32:35], v3 offset:24576
	ds_load_b128 v[36:39], v10
	ds_load_b128 v[40:43], v3 offset:10240
	ds_load_b128 v[44:47], v3 offset:18432
	;; [unrolled: 1-line block ×7, first 2 shown]
	s_wait_loadcnt_dscnt 0x20a
	v_mul_f64_e32 v[6:7], v[26:27], v[14:15]
	s_wait_dscnt 0x6
	v_mul_f64_e32 v[78:79], v[42:43], v[14:15]
	v_mul_f64_e32 v[68:69], v[24:25], v[14:15]
	s_wait_loadcnt 0x1
	v_mul_f64_e32 v[70:71], v[30:31], v[18:19]
	v_mul_f64_e32 v[72:73], v[28:29], v[18:19]
	s_wait_loadcnt 0x0
	v_mul_f64_e32 v[74:75], v[34:35], v[22:23]
	v_mul_f64_e32 v[76:77], v[32:33], v[22:23]
	v_mul_f64_e32 v[80:81], v[40:41], v[14:15]
	s_wait_dscnt 0x3
	v_mul_f64_e32 v[92:93], v[52:53], v[14:15]
	v_mul_f64_e32 v[82:83], v[46:47], v[18:19]
	;; [unrolled: 1-line block ×5, first 2 shown]
	s_wait_dscnt 0x2
	v_mul_f64_e32 v[94:95], v[58:59], v[18:19]
	v_mul_f64_e32 v[96:97], v[56:57], v[18:19]
	v_fma_f64 v[90:91], v[24:25], v[12:13], -v[6:7]
	v_mul_f64_e32 v[6:7], v[54:55], v[14:15]
	v_fma_f64 v[40:41], v[40:41], v[12:13], -v[78:79]
	s_wait_dscnt 0x1
	v_mul_f64_e32 v[78:79], v[62:63], v[14:15]
	v_mul_f64_e32 v[14:15], v[60:61], v[14:15]
	v_fma_f64 v[68:69], v[26:27], v[12:13], v[68:69]
	ds_load_b128 v[24:27], v3 offset:28672
	v_fma_f64 v[70:71], v[28:29], v[16:17], -v[70:71]
	v_fma_f64 v[72:73], v[30:31], v[16:17], v[72:73]
	ds_load_b128 v[28:31], v3 offset:30720
	v_fma_f64 v[32:33], v[32:33], v[20:21], -v[74:75]
	v_fma_f64 v[34:35], v[34:35], v[20:21], v[76:77]
	v_fma_f64 v[42:43], v[42:43], v[12:13], v[80:81]
	;; [unrolled: 1-line block ×3, first 2 shown]
	v_fma_f64 v[44:45], v[44:45], v[16:17], -v[82:83]
	v_fma_f64 v[46:47], v[46:47], v[16:17], v[84:85]
	v_fma_f64 v[48:49], v[48:49], v[20:21], -v[86:87]
	v_fma_f64 v[50:51], v[50:51], v[20:21], v[88:89]
	;; [unrolled: 2-line block ×3, first 2 shown]
	s_wait_dscnt 0x0
	v_mul_f64_e32 v[80:81], v[30:31], v[22:23]
	v_fma_f64 v[52:53], v[52:53], v[12:13], -v[6:7]
	v_mul_f64_e32 v[6:7], v[66:67], v[18:19]
	v_fma_f64 v[60:61], v[60:61], v[12:13], -v[78:79]
	v_fma_f64 v[62:63], v[62:63], v[12:13], v[14:15]
	ds_load_b128 v[12:15], v3
	v_mul_f64_e32 v[74:75], v[26:27], v[22:23]
	v_mul_f64_e32 v[76:77], v[24:25], v[22:23]
	;; [unrolled: 1-line block ×4, first 2 shown]
	v_add_f64_e64 v[32:33], v[90:91], -v[32:33]
	v_add_f64_e64 v[34:35], v[68:69], -v[34:35]
	s_wait_dscnt 0x0
	v_add_f64_e64 v[70:71], v[12:13], -v[70:71]
	v_add_f64_e64 v[72:73], v[14:15], -v[72:73]
	v_fma_f64 v[28:29], v[28:29], v[20:21], -v[80:81]
	v_fma_f64 v[64:65], v[64:65], v[16:17], -v[6:7]
	v_lshlrev_b32_e32 v6, 8, v5
	v_fma_f64 v[24:25], v[24:25], v[20:21], -v[74:75]
	v_fma_f64 v[26:27], v[26:27], v[20:21], v[76:77]
	v_fma_f64 v[66:67], v[66:67], v[16:17], v[18:19]
	;; [unrolled: 1-line block ×3, first 2 shown]
	v_lshlrev_b32_e32 v16, 8, v4
	v_add3_u32 v7, 0, v6, v11
	v_add_f64_e64 v[74:75], v[36:37], -v[44:45]
	v_add_f64_e64 v[76:77], v[38:39], -v[46:47]
	;; [unrolled: 1-line block ×3, first 2 shown]
	v_sub_nc_u32_e32 v6, v99, v16
	ds_load_b128 v[16:19], v7
	ds_load_b128 v[20:23], v6
	v_add_f64_e64 v[46:47], v[42:43], -v[50:51]
	global_wb scope:SCOPE_SE
	s_wait_dscnt 0x0
	s_barrier_signal -1
	s_barrier_wait -1
	global_inv scope:SCOPE_SE
	v_add_f64_e64 v[78:79], v[16:17], -v[56:57]
	v_add_f64_e64 v[80:81], v[18:19], -v[58:59]
	;; [unrolled: 1-line block ×4, first 2 shown]
	v_fma_f64 v[64:65], v[12:13], 2.0, -v[70:71]
	v_add_f64_e64 v[12:13], v[70:71], -v[34:35]
	v_add_f64_e64 v[48:49], v[52:53], -v[24:25]
	;; [unrolled: 1-line block ×5, first 2 shown]
	v_fma_f64 v[66:67], v[14:15], 2.0, -v[72:73]
	v_fma_f64 v[24:25], v[90:91], 2.0, -v[32:33]
	;; [unrolled: 1-line block ×6, first 2 shown]
	v_add_f64_e32 v[14:15], v[72:73], v[32:33]
	v_fma_f64 v[30:31], v[42:43], 2.0, -v[46:47]
	v_fma_f64 v[88:89], v[16:17], 2.0, -v[78:79]
	;; [unrolled: 1-line block ×5, first 2 shown]
	v_add_f64_e64 v[16:17], v[74:75], -v[46:47]
	v_add_f64_e32 v[18:19], v[76:77], v[44:45]
	v_fma_f64 v[36:37], v[52:53], 2.0, -v[48:49]
	v_fma_f64 v[38:39], v[54:55], 2.0, -v[50:51]
	;; [unrolled: 1-line block ×5, first 2 shown]
	v_add_f64_e64 v[20:21], v[64:65], -v[24:25]
	v_add_f64_e64 v[22:23], v[66:67], -v[26:27]
	;; [unrolled: 1-line block ×4, first 2 shown]
	v_fma_f64 v[46:47], v[72:73], 2.0, -v[14:15]
	v_add_f64_e64 v[26:27], v[86:87], -v[30:31]
	v_add_f64_e32 v[30:31], v[80:81], v[48:49]
	v_add_f64_e64 v[40:41], v[92:93], -v[40:41]
	v_fma_f64 v[48:49], v[74:75], 2.0, -v[16:17]
	v_fma_f64 v[50:51], v[76:77], 2.0, -v[18:19]
	v_add_f64_e64 v[32:33], v[88:89], -v[36:37]
	v_add_f64_e64 v[34:35], v[90:91], -v[38:39]
	;; [unrolled: 1-line block ×4, first 2 shown]
	v_add_f64_e32 v[38:39], v[84:85], v[56:57]
	v_fma_f64 v[52:53], v[64:65], 2.0, -v[20:21]
	v_fma_f64 v[54:55], v[66:67], 2.0, -v[22:23]
	v_lshl_or_b32 v76, v8, 2, v2
	v_lshl_or_b32 v77, v5, 2, v2
	v_fma_f64 v[56:57], v[68:69], 2.0, -v[24:25]
	v_fma_f64 v[60:61], v[78:79], 2.0, -v[28:29]
	v_lshl_or_b32 v78, v4, 2, v2
	v_and_b32_e32 v76, 57, v76
	v_and_b32_e32 v77, 0x59, v77
	v_fma_f64 v[58:59], v[86:87], 2.0, -v[26:27]
	v_fma_f64 v[62:63], v[80:81], 2.0, -v[30:31]
	v_and_b32_e32 v78, 0x79, v78
	v_mul_u32_u24_e32 v79, 3, v2
	v_lshlrev_b32_e32 v80, 8, v0
	v_lshlrev_b32_e32 v76, 8, v76
	;; [unrolled: 1-line block ×5, first 2 shown]
	v_add3_u32 v79, 0, v80, v11
	v_add3_u32 v76, 0, v76, v11
	;; [unrolled: 1-line block ×4, first 2 shown]
	v_fma_f64 v[72:73], v[92:93], 2.0, -v[40:41]
	v_fma_f64 v[64:65], v[88:89], 2.0, -v[32:33]
	;; [unrolled: 1-line block ×6, first 2 shown]
	ds_store_b128 v79, v[20:23] offset:1024
	ds_store_b128 v79, v[12:15] offset:1536
	ds_store_b128 v79, v[52:55]
	ds_store_b128 v79, v[44:47] offset:512
	ds_store_b128 v76, v[56:59]
	ds_store_b128 v76, v[48:51] offset:512
	ds_store_b128 v76, v[24:27] offset:1024
	ds_store_b128 v76, v[16:19] offset:1536
	ds_store_b128 v77, v[64:67]
	ds_store_b128 v77, v[60:63] offset:512
	ds_store_b128 v77, v[32:35] offset:1024
	;; [unrolled: 4-line block ×3, first 2 shown]
	ds_store_b128 v11, v[36:39] offset:1536
	global_wb scope:SCOPE_SE
	s_wait_dscnt 0x0
	s_barrier_signal -1
	s_barrier_wait -1
	global_inv scope:SCOPE_SE
	s_clause 0x2
	global_load_b128 v[11:14], v0, s[4:5] offset:96
	global_load_b128 v[15:18], v0, s[4:5] offset:112
	;; [unrolled: 1-line block ×3, first 2 shown]
	ds_load_b128 v[23:26], v9
	ds_load_b128 v[27:30], v3 offset:16384
	ds_load_b128 v[31:34], v3 offset:24576
	ds_load_b128 v[35:38], v10
	ds_load_b128 v[39:42], v3 offset:10240
	ds_load_b128 v[43:46], v3 offset:18432
	;; [unrolled: 1-line block ×7, first 2 shown]
	s_wait_loadcnt_dscnt 0x20a
	v_mul_f64_e32 v[67:68], v[25:26], v[13:14]
	v_mul_f64_e32 v[69:70], v[23:24], v[13:14]
	s_wait_loadcnt_dscnt 0x109
	v_mul_f64_e32 v[71:72], v[29:30], v[17:18]
	v_mul_f64_e32 v[73:74], v[27:28], v[17:18]
	;; [unrolled: 3-line block ×3, first 2 shown]
	s_wait_dscnt 0x6
	v_mul_f64_e32 v[79:80], v[41:42], v[13:14]
	v_mul_f64_e32 v[81:82], v[39:40], v[13:14]
	s_wait_dscnt 0x5
	v_mul_f64_e32 v[83:84], v[45:46], v[17:18]
	v_mul_f64_e32 v[85:86], v[43:44], v[17:18]
	;; [unrolled: 3-line block ×5, first 2 shown]
	v_fma_f64 v[67:68], v[23:24], v[11:12], -v[67:68]
	v_fma_f64 v[69:70], v[25:26], v[11:12], v[69:70]
	ds_load_b128 v[23:26], v3 offset:28672
	v_fma_f64 v[71:72], v[27:28], v[15:16], -v[71:72]
	v_fma_f64 v[73:74], v[29:30], v[15:16], v[73:74]
	ds_load_b128 v[27:30], v3 offset:30720
	v_fma_f64 v[31:32], v[31:32], v[19:20], -v[75:76]
	v_fma_f64 v[33:34], v[33:34], v[19:20], v[77:78]
	v_fma_f64 v[39:40], v[39:40], v[11:12], -v[79:80]
	v_fma_f64 v[41:42], v[41:42], v[11:12], v[81:82]
	v_fma_f64 v[43:44], v[43:44], v[15:16], -v[83:84]
	s_wait_dscnt 0x3
	v_mul_f64_e32 v[79:80], v[61:62], v[13:14]
	v_mul_f64_e32 v[13:14], v[59:60], v[13:14]
	s_wait_dscnt 0x2
	v_mul_f64_e32 v[81:82], v[65:66], v[17:18]
	v_mul_f64_e32 v[17:18], v[63:64], v[17:18]
	v_fma_f64 v[45:46], v[45:46], v[15:16], v[85:86]
	v_fma_f64 v[47:48], v[47:48], v[19:20], -v[87:88]
	v_fma_f64 v[49:50], v[49:50], v[19:20], v[89:90]
	v_fma_f64 v[51:52], v[51:52], v[11:12], -v[91:92]
	;; [unrolled: 2-line block ×3, first 2 shown]
	v_fma_f64 v[57:58], v[57:58], v[15:16], v[97:98]
	s_wait_dscnt 0x1
	v_mul_f64_e32 v[75:76], v[25:26], v[21:22]
	v_mul_f64_e32 v[77:78], v[23:24], v[21:22]
	s_wait_dscnt 0x0
	v_mul_f64_e32 v[83:84], v[29:30], v[21:22]
	v_mul_f64_e32 v[21:22], v[27:28], v[21:22]
	v_add_f64_e64 v[31:32], v[67:68], -v[31:32]
	v_add_f64_e64 v[33:34], v[69:70], -v[33:34]
	v_fma_f64 v[59:60], v[59:60], v[11:12], -v[79:80]
	v_fma_f64 v[61:62], v[61:62], v[11:12], v[13:14]
	v_fma_f64 v[63:64], v[63:64], v[15:16], -v[81:82]
	v_fma_f64 v[65:66], v[65:66], v[15:16], v[17:18]
	;; [unrolled: 2-line block ×3, first 2 shown]
	v_add_f64_e64 v[75:76], v[35:36], -v[43:44]
	v_fma_f64 v[27:28], v[27:28], v[19:20], -v[83:84]
	v_fma_f64 v[29:30], v[29:30], v[19:20], v[21:22]
	ds_load_b128 v[11:14], v3
	ds_load_b128 v[15:18], v7
	;; [unrolled: 1-line block ×3, first 2 shown]
	v_add_f64_e64 v[77:78], v[37:38], -v[45:46]
	v_add_f64_e64 v[43:44], v[39:40], -v[47:48]
	;; [unrolled: 1-line block ×3, first 2 shown]
	global_wb scope:SCOPE_SE
	s_wait_dscnt 0x0
	s_barrier_signal -1
	s_barrier_wait -1
	global_inv scope:SCOPE_SE
	v_add_f64_e64 v[71:72], v[11:12], -v[71:72]
	v_add_f64_e64 v[73:74], v[13:14], -v[73:74]
	;; [unrolled: 1-line block ×4, first 2 shown]
	v_fma_f64 v[49:50], v[69:70], 2.0, -v[33:34]
	v_add_f64_e64 v[63:64], v[19:20], -v[63:64]
	v_add_f64_e64 v[79:80], v[21:22], -v[65:66]
	;; [unrolled: 1-line block ×6, first 2 shown]
	v_fma_f64 v[29:30], v[67:68], 2.0, -v[31:32]
	v_fma_f64 v[67:68], v[35:36], 2.0, -v[75:76]
	;; [unrolled: 1-line block ×9, first 2 shown]
	v_add_f64_e64 v[11:12], v[71:72], -v[33:34]
	v_add_f64_e32 v[13:14], v[73:74], v[31:32]
	v_fma_f64 v[87:88], v[19:20], 2.0, -v[63:64]
	v_fma_f64 v[89:90], v[21:22], 2.0, -v[79:80]
	v_add_f64_e64 v[15:16], v[75:76], -v[45:46]
	v_add_f64_e32 v[17:18], v[77:78], v[43:44]
	v_fma_f64 v[39:40], v[51:52], 2.0, -v[23:24]
	v_fma_f64 v[41:42], v[53:54], 2.0, -v[25:26]
	v_add_f64_e32 v[21:22], v[57:58], v[23:24]
	v_fma_f64 v[51:52], v[59:60], 2.0, -v[47:48]
	v_fma_f64 v[53:54], v[61:62], 2.0, -v[27:28]
	v_add_f64_e64 v[23:24], v[63:64], -v[27:28]
	v_add_f64_e64 v[19:20], v[55:56], -v[25:26]
	v_add_f64_e32 v[25:26], v[79:80], v[47:48]
	v_add_f64_e64 v[31:32], v[67:68], -v[35:36]
	v_add_f64_e64 v[33:34], v[69:70], -v[37:38]
	v_add_f64_e64 v[27:28], v[65:66], -v[29:30]
	v_add_f64_e64 v[29:30], v[81:82], -v[49:50]
	v_fma_f64 v[43:44], v[71:72], 2.0, -v[11:12]
	v_fma_f64 v[45:46], v[73:74], 2.0, -v[13:14]
	;; [unrolled: 1-line block ×4, first 2 shown]
	v_add_f64_e64 v[35:36], v[83:84], -v[39:40]
	v_add_f64_e64 v[37:38], v[85:86], -v[41:42]
	;; [unrolled: 1-line block ×4, first 2 shown]
	v_fma_f64 v[53:54], v[57:58], 2.0, -v[21:22]
	v_fma_f64 v[51:52], v[55:56], 2.0, -v[19:20]
	;; [unrolled: 1-line block ×12, first 2 shown]
	ds_store_b128 v3, v[27:30] offset:4096
	ds_store_b128 v3, v[11:14] offset:6144
	;; [unrolled: 1-line block ×8, first 2 shown]
	ds_store_b128 v3, v[59:62]
	ds_store_b128 v3, v[43:46] offset:2048
	ds_store_b128 v3, v[63:66] offset:8192
	;; [unrolled: 1-line block ×7, first 2 shown]
	global_wb scope:SCOPE_SE
	s_wait_dscnt 0x0
	s_barrier_signal -1
	s_barrier_wait -1
	global_inv scope:SCOPE_SE
	s_clause 0x2
	global_load_b128 v[11:14], v0, s[4:5] offset:480
	global_load_b128 v[15:18], v0, s[4:5] offset:496
	global_load_b128 v[19:22], v0, s[4:5] offset:512
	v_mul_u32_u24_e32 v0, 3, v8
	s_delay_alu instid0(VALU_DEP_1)
	v_lshlrev_b32_e32 v0, 4, v0
	s_clause 0x2
	global_load_b128 v[23:26], v0, s[4:5] offset:480
	global_load_b128 v[27:30], v0, s[4:5] offset:496
	global_load_b128 v[31:34], v0, s[4:5] offset:512
	v_mul_u32_u24_e32 v0, 3, v5
	s_delay_alu instid0(VALU_DEP_1)
	v_lshlrev_b32_e32 v0, 4, v0
	;; [unrolled: 7-line block ×3, first 2 shown]
	s_clause 0x2
	global_load_b128 v[47:50], v0, s[4:5] offset:480
	global_load_b128 v[51:54], v0, s[4:5] offset:496
	;; [unrolled: 1-line block ×3, first 2 shown]
	ds_load_b128 v[59:62], v9
	ds_load_b128 v[63:66], v10
	ds_load_b128 v[67:70], v3 offset:16384
	ds_load_b128 v[71:74], v3 offset:24576
	;; [unrolled: 1-line block ×5, first 2 shown]
	s_lshl_b32 s4, s14, 5
	s_wait_loadcnt_dscnt 0xb06
	v_mul_f64_e32 v[9:10], v[61:62], v[13:14]
	v_mul_f64_e32 v[13:14], v[59:60], v[13:14]
	s_wait_loadcnt_dscnt 0xa04
	v_mul_f64_e32 v[87:88], v[69:70], v[17:18]
	v_mul_f64_e32 v[17:18], v[67:68], v[17:18]
	;; [unrolled: 3-line block ×3, first 2 shown]
	v_fma_f64 v[59:60], v[59:60], v[11:12], -v[9:10]
	v_fma_f64 v[61:62], v[61:62], v[11:12], v[13:14]
	v_mul_f64_e32 v[9:10], v[73:74], v[21:22]
	v_mul_f64_e32 v[11:12], v[71:72], v[21:22]
	;; [unrolled: 1-line block ×4, first 2 shown]
	v_fma_f64 v[67:68], v[67:68], v[15:16], -v[87:88]
	v_mul_f64_e32 v[87:88], v[77:78], v[29:30]
	v_mul_f64_e32 v[29:30], v[75:76], v[29:30]
	v_fma_f64 v[69:70], v[69:70], v[15:16], v[17:18]
	ds_load_b128 v[13:16], v3 offset:20480
	v_fma_f64 v[83:84], v[83:84], v[31:32], -v[89:90]
	v_fma_f64 v[33:34], v[85:86], v[31:32], v[33:34]
	v_fma_f64 v[71:72], v[71:72], v[19:20], -v[9:10]
	v_fma_f64 v[73:74], v[73:74], v[19:20], v[11:12]
	ds_load_b128 v[9:12], v3 offset:12288
	ds_load_b128 v[17:20], v3 offset:14336
	v_fma_f64 v[79:80], v[79:80], v[23:24], -v[21:22]
	v_fma_f64 v[81:82], v[81:82], v[23:24], v[25:26]
	v_fma_f64 v[75:76], v[75:76], v[27:28], -v[87:88]
	ds_load_b128 v[21:24], v3 offset:22528
	s_wait_loadcnt_dscnt 0x403
	v_mul_f64_e32 v[87:88], v[15:16], v[41:42]
	v_mul_f64_e32 v[41:42], v[13:14], v[41:42]
	v_fma_f64 v[77:78], v[77:78], v[27:28], v[29:30]
	ds_load_b128 v[25:28], v3 offset:28672
	ds_load_b128 v[29:32], v3 offset:30720
	s_wait_dscnt 0x4
	v_mul_f64_e32 v[91:92], v[11:12], v[37:38]
	v_mul_f64_e32 v[37:38], v[9:10], v[37:38]
	v_add_f64_e64 v[33:34], v[81:82], -v[33:34]
	v_fma_f64 v[87:88], v[13:14], v[39:40], -v[87:88]
	s_wait_loadcnt_dscnt 0x203
	v_mul_f64_e32 v[13:14], v[19:20], v[49:50]
	v_fma_f64 v[15:16], v[15:16], v[39:40], v[41:42]
	v_mul_f64_e32 v[39:40], v[17:18], v[49:50]
	v_mul_lo_u32 v41, v2, s14
	v_mov_b32_e32 v42, 0
	v_or_b32_e32 v89, s8, v1
	v_fma_f64 v[85:86], v[9:10], v[35:36], -v[91:92]
	v_fma_f64 v[35:36], v[11:12], v[35:36], v[37:38]
	ds_load_b128 v[9:12], v3
	s_wait_dscnt 0x2
	v_mul_f64_e32 v[37:38], v[27:28], v[45:46]
	v_mul_f64_e32 v[45:46], v[25:26], v[45:46]
	v_lshlrev_b64_e32 v[2:3], 4, v[41:42]
	v_add_nc_u32_e32 v41, s4, v41
	s_wait_dscnt 0x0
	v_add_f64_e64 v[49:50], v[9:10], -v[67:68]
	v_add_f64_e64 v[67:68], v[11:12], -v[69:70]
	;; [unrolled: 1-line block ×4, first 2 shown]
	v_lshlrev_b64_e32 v[73:74], 4, v[41:42]
	v_add_nc_u32_e32 v41, s4, v41
	v_fma_f64 v[17:18], v[17:18], v[47:48], -v[13:14]
	s_wait_loadcnt 0x1
	v_mul_f64_e32 v[13:14], v[21:22], v[53:54]
	v_fma_f64 v[19:20], v[19:20], v[47:48], v[39:40]
	v_lshlrev_b64_e32 v[0:1], 4, v[41:42]
	v_add_nc_u32_e32 v41, s4, v41
	v_fma_f64 v[25:26], v[25:26], v[43:44], -v[37:38]
	v_mad_co_u64_u32 v[37:38], null, s12, v89, 0
	v_fma_f64 v[27:28], v[27:28], v[43:44], v[45:46]
	v_mul_f64_e32 v[45:46], v[23:24], v[53:54]
	v_lshlrev_b64_e32 v[43:44], 4, v[41:42]
	v_mul_lo_u32 v41, v8, s14
	v_mov_b32_e32 v8, v38
	s_delay_alu instid0(VALU_DEP_1) | instskip(NEXT) | instid1(VALU_DEP_3)
	v_mad_co_u64_u32 v[47:48], null, s13, v89, v[8:9]
	v_lshlrev_b64_e32 v[39:40], 4, v[41:42]
	v_add_nc_u32_e32 v41, s4, v41
	v_fma_f64 v[8:9], v[9:10], 2.0, -v[49:50]
	v_fma_f64 v[10:11], v[11:12], 2.0, -v[67:68]
	;; [unrolled: 1-line block ×4, first 2 shown]
	v_mov_b32_e32 v38, v47
	v_lshlrev_b64_e32 v[53:54], 4, v[41:42]
	v_add_nc_u32_e32 v41, s4, v41
	v_fma_f64 v[23:24], v[23:24], v[51:52], v[13:14]
	s_delay_alu instid0(VALU_DEP_4) | instskip(NEXT) | instid1(VALU_DEP_3)
	v_lshlrev_b64_e32 v[37:38], 4, v[37:38]
	v_lshlrev_b64_e32 v[47:48], 4, v[41:42]
	v_add_nc_u32_e32 v41, s4, v41
	s_wait_alu 0xfffe
	s_delay_alu instid0(VALU_DEP_3)
	v_add_co_u32 v113, vcc_lo, s0, v37
	s_wait_alu 0xfffd
	v_add_co_ci_u32_e32 v114, vcc_lo, s1, v38, vcc_lo
	s_wait_loadcnt 0x0
	v_mul_f64_e32 v[37:38], v[31:32], v[57:58]
	v_lshlrev_b64_e32 v[89:90], 4, v[41:42]
	v_mul_lo_u32 v41, v5, s14
	v_add_f64_e64 v[25:26], v[85:86], -v[25:26]
	v_fma_f64 v[21:22], v[21:22], v[51:52], -v[45:46]
	v_add_co_u32 v51, vcc_lo, v113, v2
	s_wait_alu 0xfffd
	v_add_co_ci_u32_e32 v52, vcc_lo, v114, v3, vcc_lo
	v_add_co_u32 v73, vcc_lo, v113, v73
	s_wait_alu 0xfffd
	v_add_co_ci_u32_e32 v74, vcc_lo, v114, v74, vcc_lo
	;; [unrolled: 3-line block ×3, first 2 shown]
	v_mul_f64_e32 v[45:46], v[29:30], v[57:58]
	v_lshlrev_b64_e32 v[12:13], 4, v[41:42]
	v_add_nc_u32_e32 v41, s4, v41
	v_add_f64_e64 v[27:28], v[35:36], -v[27:28]
	v_add_f64_e64 v[0:1], v[8:9], -v[59:60]
	;; [unrolled: 1-line block ×3, first 2 shown]
	v_add_co_u32 v60, vcc_lo, v113, v43
	s_wait_alu 0xfffd
	v_add_co_ci_u32_e32 v61, vcc_lo, v114, v44, vcc_lo
	v_add_co_u32 v93, vcc_lo, v113, v39
	s_wait_alu 0xfffd
	v_add_co_ci_u32_e32 v94, vcc_lo, v114, v40, vcc_lo
	v_add_co_u32 v95, vcc_lo, v113, v53
	v_lshlrev_b64_e32 v[39:40], 4, v[41:42]
	v_add_nc_u32_e32 v41, s4, v41
	s_wait_alu 0xfffd
	v_add_co_ci_u32_e32 v96, vcc_lo, v114, v54, vcc_lo
	v_add_co_u32 v97, vcc_lo, v113, v47
	s_wait_alu 0xfffd
	v_add_co_ci_u32_e32 v98, vcc_lo, v114, v48, vcc_lo
	v_add_co_u32 v89, vcc_lo, v113, v89
	v_fma_f64 v[29:30], v[29:30], v[55:56], -v[37:38]
	v_lshlrev_b64_e32 v[37:38], 4, v[41:42]
	v_add_nc_u32_e32 v41, s4, v41
	s_wait_alu 0xfffd
	v_add_co_ci_u32_e32 v90, vcc_lo, v114, v90, vcc_lo
	v_add_co_u32 v99, vcc_lo, v113, v12
	s_wait_alu 0xfffd
	v_add_co_ci_u32_e32 v100, vcc_lo, v114, v13, vcc_lo
	v_lshlrev_b64_e32 v[12:13], 4, v[41:42]
	v_mul_lo_u32 v41, v4, s14
	v_add_co_u32 v101, vcc_lo, v113, v39
	v_fma_f64 v[31:32], v[31:32], v[55:56], v[45:46]
	s_wait_alu 0xfffd
	v_add_co_ci_u32_e32 v102, vcc_lo, v114, v40, vcc_lo
	v_fma_f64 v[8:9], v[8:9], 2.0, -v[0:1]
	v_fma_f64 v[10:11], v[10:11], 2.0, -v[2:3]
	v_add_co_u32 v103, vcc_lo, v113, v37
	v_lshlrev_b64_e32 v[4:5], 4, v[41:42]
	v_add_nc_u32_e32 v41, s4, v41
	s_wait_alu 0xfffd
	v_add_co_ci_u32_e32 v104, vcc_lo, v114, v38, vcc_lo
	v_add_co_u32 v105, vcc_lo, v113, v12
	s_wait_alu 0xfffd
	v_add_co_ci_u32_e32 v106, vcc_lo, v114, v13, vcc_lo
	v_lshlrev_b64_e32 v[12:13], 4, v[41:42]
	v_add_co_u32 v107, vcc_lo, v113, v4
	s_wait_alu 0xfffd
	v_add_co_ci_u32_e32 v108, vcc_lo, v114, v5, vcc_lo
	v_add_nc_u32_e32 v41, s4, v41
	s_delay_alu instid0(VALU_DEP_4) | instskip(SKIP_2) | instid1(VALU_DEP_3)
	v_add_co_u32 v109, vcc_lo, v113, v12
	s_wait_alu 0xfffd
	v_add_co_ci_u32_e32 v110, vcc_lo, v114, v13, vcc_lo
	v_lshlrev_b64_e32 v[4:5], 4, v[41:42]
	v_add_nc_u32_e32 v41, s4, v41
	v_add_f64_e64 v[37:38], v[79:80], -v[83:84]
	v_add_f64_e64 v[44:45], v[17:18], -v[29:30]
	s_delay_alu instid0(VALU_DEP_4)
	v_add_co_u32 v111, vcc_lo, v113, v4
	s_wait_alu 0xfffd
	v_add_co_ci_u32_e32 v112, vcc_lo, v114, v5, vcc_lo
	v_lshlrev_b64_e32 v[4:5], 4, v[41:42]
	v_add_f64_e64 v[40:41], v[63:64], -v[75:76]
	v_add_f64_e64 v[42:43], v[65:66], -v[77:78]
	;; [unrolled: 1-line block ×3, first 2 shown]
	v_fma_f64 v[31:32], v[35:36], 2.0, -v[27:28]
	v_add_co_u32 v113, vcc_lo, v113, v4
	global_store_b128 v[51:52], v[8:11], off
	ds_load_b128 v[7:10], v7
	ds_load_b128 v[11:14], v6
	s_wait_alu 0xfffd
	v_add_co_ci_u32_e32 v114, vcc_lo, v114, v5, vcc_lo
	v_add_f64_e64 v[4:5], v[49:50], -v[71:72]
	s_wait_dscnt 0x1
	v_add_f64_e64 v[51:52], v[7:8], -v[87:88]
	v_add_f64_e64 v[53:54], v[9:10], -v[15:16]
	s_wait_dscnt 0x0
	v_add_f64_e64 v[56:57], v[11:12], -v[21:22]
	v_add_f64_e64 v[58:59], v[13:14], -v[23:24]
	v_fma_f64 v[15:16], v[79:80], 2.0, -v[37:38]
	v_fma_f64 v[21:22], v[81:82], 2.0, -v[33:34]
	;; [unrolled: 1-line block ×11, first 2 shown]
	v_add_f64_e32 v[6:7], v[67:68], v[69:70]
	v_add_f64_e64 v[12:13], v[40:41], -v[33:34]
	v_add_f64_e64 v[8:9], v[46:47], -v[15:16]
	;; [unrolled: 1-line block ×3, first 2 shown]
	v_add_f64_e32 v[14:15], v[42:43], v[37:38]
	v_add_f64_e64 v[20:21], v[51:52], -v[27:28]
	v_add_f64_e64 v[28:29], v[56:57], -v[29:30]
	;; [unrolled: 1-line block ×4, first 2 shown]
	v_add_f64_e32 v[22:23], v[53:54], v[25:26]
	v_add_f64_e64 v[24:25], v[77:78], -v[35:36]
	v_add_f64_e64 v[26:27], v[79:80], -v[81:82]
	v_add_f64_e32 v[30:31], v[58:59], v[44:45]
	v_fma_f64 v[32:33], v[49:50], 2.0, -v[4:5]
	v_fma_f64 v[34:35], v[67:68], 2.0, -v[6:7]
	;; [unrolled: 1-line block ×14, first 2 shown]
	s_clause 0xe
	global_store_b128 v[73:74], v[32:35], off
	global_store_b128 v[91:92], v[0:3], off
	;; [unrolled: 1-line block ×15, first 2 shown]
	s_nop 0
	s_sendmsg sendmsg(MSG_DEALLOC_VGPRS)
	s_endpgm
	.section	.rodata,"a",@progbits
	.p2align	6, 0x0
	.amdhsa_kernel fft_rtc_fwd_len128_factors_2_4_4_4_wgs_128_tpt_8_dim2_dp_op_CI_CI_sbrc_aligned_dirReg
		.amdhsa_group_segment_fixed_size 0
		.amdhsa_private_segment_fixed_size 0
		.amdhsa_kernarg_size 96
		.amdhsa_user_sgpr_count 2
		.amdhsa_user_sgpr_dispatch_ptr 0
		.amdhsa_user_sgpr_queue_ptr 0
		.amdhsa_user_sgpr_kernarg_segment_ptr 1
		.amdhsa_user_sgpr_dispatch_id 0
		.amdhsa_user_sgpr_private_segment_size 0
		.amdhsa_wavefront_size32 1
		.amdhsa_uses_dynamic_stack 0
		.amdhsa_enable_private_segment 0
		.amdhsa_system_sgpr_workgroup_id_x 1
		.amdhsa_system_sgpr_workgroup_id_y 0
		.amdhsa_system_sgpr_workgroup_id_z 0
		.amdhsa_system_sgpr_workgroup_info 0
		.amdhsa_system_vgpr_workitem_id 0
		.amdhsa_next_free_vgpr 115
		.amdhsa_next_free_sgpr 24
		.amdhsa_reserve_vcc 1
		.amdhsa_float_round_mode_32 0
		.amdhsa_float_round_mode_16_64 0
		.amdhsa_float_denorm_mode_32 3
		.amdhsa_float_denorm_mode_16_64 3
		.amdhsa_fp16_overflow 0
		.amdhsa_workgroup_processor_mode 1
		.amdhsa_memory_ordered 1
		.amdhsa_forward_progress 0
		.amdhsa_round_robin_scheduling 0
		.amdhsa_exception_fp_ieee_invalid_op 0
		.amdhsa_exception_fp_denorm_src 0
		.amdhsa_exception_fp_ieee_div_zero 0
		.amdhsa_exception_fp_ieee_overflow 0
		.amdhsa_exception_fp_ieee_underflow 0
		.amdhsa_exception_fp_ieee_inexact 0
		.amdhsa_exception_int_div_zero 0
	.end_amdhsa_kernel
	.text
.Lfunc_end0:
	.size	fft_rtc_fwd_len128_factors_2_4_4_4_wgs_128_tpt_8_dim2_dp_op_CI_CI_sbrc_aligned_dirReg, .Lfunc_end0-fft_rtc_fwd_len128_factors_2_4_4_4_wgs_128_tpt_8_dim2_dp_op_CI_CI_sbrc_aligned_dirReg
                                        ; -- End function
	.section	.AMDGPU.csdata,"",@progbits
; Kernel info:
; codeLenInByte = 6260
; NumSgprs: 26
; NumVgprs: 115
; ScratchSize: 0
; MemoryBound: 0
; FloatMode: 240
; IeeeMode: 1
; LDSByteSize: 0 bytes/workgroup (compile time only)
; SGPRBlocks: 3
; VGPRBlocks: 14
; NumSGPRsForWavesPerEU: 26
; NumVGPRsForWavesPerEU: 115
; Occupancy: 12
; WaveLimiterHint : 1
; COMPUTE_PGM_RSRC2:SCRATCH_EN: 0
; COMPUTE_PGM_RSRC2:USER_SGPR: 2
; COMPUTE_PGM_RSRC2:TRAP_HANDLER: 0
; COMPUTE_PGM_RSRC2:TGID_X_EN: 1
; COMPUTE_PGM_RSRC2:TGID_Y_EN: 0
; COMPUTE_PGM_RSRC2:TGID_Z_EN: 0
; COMPUTE_PGM_RSRC2:TIDIG_COMP_CNT: 0
	.text
	.p2alignl 7, 3214868480
	.fill 96, 4, 3214868480
	.type	__hip_cuid_9284b4fc7734d162,@object ; @__hip_cuid_9284b4fc7734d162
	.section	.bss,"aw",@nobits
	.globl	__hip_cuid_9284b4fc7734d162
__hip_cuid_9284b4fc7734d162:
	.byte	0                               ; 0x0
	.size	__hip_cuid_9284b4fc7734d162, 1

	.ident	"AMD clang version 19.0.0git (https://github.com/RadeonOpenCompute/llvm-project roc-6.4.0 25133 c7fe45cf4b819c5991fe208aaa96edf142730f1d)"
	.section	".note.GNU-stack","",@progbits
	.addrsig
	.addrsig_sym __hip_cuid_9284b4fc7734d162
	.amdgpu_metadata
---
amdhsa.kernels:
  - .args:
      - .actual_access:  read_only
        .address_space:  global
        .offset:         0
        .size:           8
        .value_kind:     global_buffer
      - .actual_access:  read_only
        .address_space:  global
        .offset:         8
        .size:           8
        .value_kind:     global_buffer
      - .actual_access:  read_only
        .address_space:  global
        .offset:         16
        .size:           8
        .value_kind:     global_buffer
      - .actual_access:  read_only
        .address_space:  global
        .offset:         24
        .size:           8
        .value_kind:     global_buffer
      - .offset:         32
        .size:           8
        .value_kind:     by_value
      - .actual_access:  read_only
        .address_space:  global
        .offset:         40
        .size:           8
        .value_kind:     global_buffer
      - .actual_access:  read_only
        .address_space:  global
        .offset:         48
        .size:           8
        .value_kind:     global_buffer
      - .offset:         56
        .size:           4
        .value_kind:     by_value
      - .actual_access:  read_only
        .address_space:  global
        .offset:         64
        .size:           8
        .value_kind:     global_buffer
      - .actual_access:  read_only
        .address_space:  global
        .offset:         72
        .size:           8
        .value_kind:     global_buffer
      - .actual_access:  read_only
        .address_space:  global
        .offset:         80
        .size:           8
        .value_kind:     global_buffer
      - .actual_access:  write_only
        .address_space:  global
        .offset:         88
        .size:           8
        .value_kind:     global_buffer
    .group_segment_fixed_size: 0
    .kernarg_segment_align: 8
    .kernarg_segment_size: 96
    .language:       OpenCL C
    .language_version:
      - 2
      - 0
    .max_flat_workgroup_size: 128
    .name:           fft_rtc_fwd_len128_factors_2_4_4_4_wgs_128_tpt_8_dim2_dp_op_CI_CI_sbrc_aligned_dirReg
    .private_segment_fixed_size: 0
    .sgpr_count:     26
    .sgpr_spill_count: 0
    .symbol:         fft_rtc_fwd_len128_factors_2_4_4_4_wgs_128_tpt_8_dim2_dp_op_CI_CI_sbrc_aligned_dirReg.kd
    .uniform_work_group_size: 1
    .uses_dynamic_stack: false
    .vgpr_count:     115
    .vgpr_spill_count: 0
    .wavefront_size: 32
    .workgroup_processor_mode: 1
amdhsa.target:   amdgcn-amd-amdhsa--gfx1201
amdhsa.version:
  - 1
  - 2
...

	.end_amdgpu_metadata
